;; amdgpu-corpus repo=ROCm/rocFFT kind=compiled arch=gfx906 opt=O3
	.text
	.amdgcn_target "amdgcn-amd-amdhsa--gfx906"
	.amdhsa_code_object_version 6
	.protected	fft_rtc_fwd_len1792_factors_4_4_4_4_7_wgs_224_tpt_224_halfLds_half_ip_CI_unitstride_sbrr_dirReg ; -- Begin function fft_rtc_fwd_len1792_factors_4_4_4_4_7_wgs_224_tpt_224_halfLds_half_ip_CI_unitstride_sbrr_dirReg
	.globl	fft_rtc_fwd_len1792_factors_4_4_4_4_7_wgs_224_tpt_224_halfLds_half_ip_CI_unitstride_sbrr_dirReg
	.p2align	8
	.type	fft_rtc_fwd_len1792_factors_4_4_4_4_7_wgs_224_tpt_224_halfLds_half_ip_CI_unitstride_sbrr_dirReg,@function
fft_rtc_fwd_len1792_factors_4_4_4_4_7_wgs_224_tpt_224_halfLds_half_ip_CI_unitstride_sbrr_dirReg: ; @fft_rtc_fwd_len1792_factors_4_4_4_4_7_wgs_224_tpt_224_halfLds_half_ip_CI_unitstride_sbrr_dirReg
; %bb.0:
	s_load_dwordx2 s[2:3], s[4:5], 0x50
	s_load_dwordx4 s[8:11], s[4:5], 0x0
	s_load_dwordx2 s[12:13], s[4:5], 0x18
	v_mul_u32_u24_e32 v1, 0x125, v0
	v_add_u32_sdwa v5, s6, v1 dst_sel:DWORD dst_unused:UNUSED_PAD src0_sel:DWORD src1_sel:WORD_1
	v_mov_b32_e32 v3, 0
	s_waitcnt lgkmcnt(0)
	v_cmp_lt_u64_e64 s[0:1], s[10:11], 2
	v_mov_b32_e32 v1, 0
	v_mov_b32_e32 v6, v3
	s_and_b64 vcc, exec, s[0:1]
	v_mov_b32_e32 v2, 0
	s_cbranch_vccnz .LBB0_8
; %bb.1:
	s_load_dwordx2 s[0:1], s[4:5], 0x10
	s_add_u32 s6, s12, 8
	s_addc_u32 s7, s13, 0
	v_mov_b32_e32 v1, 0
	v_mov_b32_e32 v2, 0
	s_waitcnt lgkmcnt(0)
	s_add_u32 s14, s0, 8
	s_addc_u32 s15, s1, 0
	s_mov_b64 s[16:17], 1
.LBB0_2:                                ; =>This Inner Loop Header: Depth=1
	s_load_dwordx2 s[18:19], s[14:15], 0x0
                                        ; implicit-def: $vgpr7_vgpr8
	s_waitcnt lgkmcnt(0)
	v_or_b32_e32 v4, s19, v6
	v_cmp_ne_u64_e32 vcc, 0, v[3:4]
	s_and_saveexec_b64 s[0:1], vcc
	s_xor_b64 s[20:21], exec, s[0:1]
	s_cbranch_execz .LBB0_4
; %bb.3:                                ;   in Loop: Header=BB0_2 Depth=1
	v_cvt_f32_u32_e32 v4, s18
	v_cvt_f32_u32_e32 v7, s19
	s_sub_u32 s0, 0, s18
	s_subb_u32 s1, 0, s19
	v_mac_f32_e32 v4, 0x4f800000, v7
	v_rcp_f32_e32 v4, v4
	v_mul_f32_e32 v4, 0x5f7ffffc, v4
	v_mul_f32_e32 v7, 0x2f800000, v4
	v_trunc_f32_e32 v7, v7
	v_mac_f32_e32 v4, 0xcf800000, v7
	v_cvt_u32_f32_e32 v7, v7
	v_cvt_u32_f32_e32 v4, v4
	v_mul_lo_u32 v8, s0, v7
	v_mul_hi_u32 v9, s0, v4
	v_mul_lo_u32 v11, s1, v4
	v_mul_lo_u32 v10, s0, v4
	v_add_u32_e32 v8, v9, v8
	v_add_u32_e32 v8, v8, v11
	v_mul_hi_u32 v9, v4, v10
	v_mul_lo_u32 v11, v4, v8
	v_mul_hi_u32 v13, v4, v8
	v_mul_hi_u32 v12, v7, v10
	v_mul_lo_u32 v10, v7, v10
	v_mul_hi_u32 v14, v7, v8
	v_add_co_u32_e32 v9, vcc, v9, v11
	v_addc_co_u32_e32 v11, vcc, 0, v13, vcc
	v_mul_lo_u32 v8, v7, v8
	v_add_co_u32_e32 v9, vcc, v9, v10
	v_addc_co_u32_e32 v9, vcc, v11, v12, vcc
	v_addc_co_u32_e32 v10, vcc, 0, v14, vcc
	v_add_co_u32_e32 v8, vcc, v9, v8
	v_addc_co_u32_e32 v9, vcc, 0, v10, vcc
	v_add_co_u32_e32 v4, vcc, v4, v8
	v_addc_co_u32_e32 v7, vcc, v7, v9, vcc
	v_mul_lo_u32 v8, s0, v7
	v_mul_hi_u32 v9, s0, v4
	v_mul_lo_u32 v10, s1, v4
	v_mul_lo_u32 v11, s0, v4
	v_add_u32_e32 v8, v9, v8
	v_add_u32_e32 v8, v8, v10
	v_mul_lo_u32 v12, v4, v8
	v_mul_hi_u32 v13, v4, v11
	v_mul_hi_u32 v14, v4, v8
	;; [unrolled: 1-line block ×3, first 2 shown]
	v_mul_lo_u32 v11, v7, v11
	v_mul_hi_u32 v9, v7, v8
	v_add_co_u32_e32 v12, vcc, v13, v12
	v_addc_co_u32_e32 v13, vcc, 0, v14, vcc
	v_mul_lo_u32 v8, v7, v8
	v_add_co_u32_e32 v11, vcc, v12, v11
	v_addc_co_u32_e32 v10, vcc, v13, v10, vcc
	v_addc_co_u32_e32 v9, vcc, 0, v9, vcc
	v_add_co_u32_e32 v8, vcc, v10, v8
	v_addc_co_u32_e32 v9, vcc, 0, v9, vcc
	v_add_co_u32_e32 v4, vcc, v4, v8
	v_addc_co_u32_e32 v9, vcc, v7, v9, vcc
	v_mad_u64_u32 v[7:8], s[0:1], v5, v9, 0
	v_mul_hi_u32 v10, v5, v4
	v_add_co_u32_e32 v11, vcc, v10, v7
	v_addc_co_u32_e32 v12, vcc, 0, v8, vcc
	v_mad_u64_u32 v[7:8], s[0:1], v6, v4, 0
	v_mad_u64_u32 v[9:10], s[0:1], v6, v9, 0
	v_add_co_u32_e32 v4, vcc, v11, v7
	v_addc_co_u32_e32 v4, vcc, v12, v8, vcc
	v_addc_co_u32_e32 v7, vcc, 0, v10, vcc
	v_add_co_u32_e32 v4, vcc, v4, v9
	v_addc_co_u32_e32 v9, vcc, 0, v7, vcc
	v_mul_lo_u32 v10, s19, v4
	v_mul_lo_u32 v11, s18, v9
	v_mad_u64_u32 v[7:8], s[0:1], s18, v4, 0
	v_add3_u32 v8, v8, v11, v10
	v_sub_u32_e32 v10, v6, v8
	v_mov_b32_e32 v11, s19
	v_sub_co_u32_e32 v7, vcc, v5, v7
	v_subb_co_u32_e64 v10, s[0:1], v10, v11, vcc
	v_subrev_co_u32_e64 v11, s[0:1], s18, v7
	v_subbrev_co_u32_e64 v10, s[0:1], 0, v10, s[0:1]
	v_cmp_le_u32_e64 s[0:1], s19, v10
	v_cndmask_b32_e64 v12, 0, -1, s[0:1]
	v_cmp_le_u32_e64 s[0:1], s18, v11
	v_cndmask_b32_e64 v11, 0, -1, s[0:1]
	v_cmp_eq_u32_e64 s[0:1], s19, v10
	v_cndmask_b32_e64 v10, v12, v11, s[0:1]
	v_add_co_u32_e64 v11, s[0:1], 2, v4
	v_addc_co_u32_e64 v12, s[0:1], 0, v9, s[0:1]
	v_add_co_u32_e64 v13, s[0:1], 1, v4
	v_addc_co_u32_e64 v14, s[0:1], 0, v9, s[0:1]
	v_subb_co_u32_e32 v8, vcc, v6, v8, vcc
	v_cmp_ne_u32_e64 s[0:1], 0, v10
	v_cmp_le_u32_e32 vcc, s19, v8
	v_cndmask_b32_e64 v10, v14, v12, s[0:1]
	v_cndmask_b32_e64 v12, 0, -1, vcc
	v_cmp_le_u32_e32 vcc, s18, v7
	v_cndmask_b32_e64 v7, 0, -1, vcc
	v_cmp_eq_u32_e32 vcc, s19, v8
	v_cndmask_b32_e32 v7, v12, v7, vcc
	v_cmp_ne_u32_e32 vcc, 0, v7
	v_cndmask_b32_e64 v7, v13, v11, s[0:1]
	v_cndmask_b32_e32 v8, v9, v10, vcc
	v_cndmask_b32_e32 v7, v4, v7, vcc
.LBB0_4:                                ;   in Loop: Header=BB0_2 Depth=1
	s_andn2_saveexec_b64 s[0:1], s[20:21]
	s_cbranch_execz .LBB0_6
; %bb.5:                                ;   in Loop: Header=BB0_2 Depth=1
	v_cvt_f32_u32_e32 v4, s18
	s_sub_i32 s20, 0, s18
	v_rcp_iflag_f32_e32 v4, v4
	v_mul_f32_e32 v4, 0x4f7ffffe, v4
	v_cvt_u32_f32_e32 v4, v4
	v_mul_lo_u32 v7, s20, v4
	v_mul_hi_u32 v7, v4, v7
	v_add_u32_e32 v4, v4, v7
	v_mul_hi_u32 v4, v5, v4
	v_mul_lo_u32 v7, v4, s18
	v_add_u32_e32 v8, 1, v4
	v_sub_u32_e32 v7, v5, v7
	v_subrev_u32_e32 v9, s18, v7
	v_cmp_le_u32_e32 vcc, s18, v7
	v_cndmask_b32_e32 v7, v7, v9, vcc
	v_cndmask_b32_e32 v4, v4, v8, vcc
	v_add_u32_e32 v8, 1, v4
	v_cmp_le_u32_e32 vcc, s18, v7
	v_cndmask_b32_e32 v7, v4, v8, vcc
	v_mov_b32_e32 v8, v3
.LBB0_6:                                ;   in Loop: Header=BB0_2 Depth=1
	s_or_b64 exec, exec, s[0:1]
	v_mul_lo_u32 v4, v8, s18
	v_mul_lo_u32 v11, v7, s19
	v_mad_u64_u32 v[9:10], s[0:1], v7, s18, 0
	s_load_dwordx2 s[0:1], s[6:7], 0x0
	s_add_u32 s16, s16, 1
	v_add3_u32 v4, v10, v11, v4
	v_sub_co_u32_e32 v5, vcc, v5, v9
	v_subb_co_u32_e32 v4, vcc, v6, v4, vcc
	s_waitcnt lgkmcnt(0)
	v_mul_lo_u32 v4, s0, v4
	v_mul_lo_u32 v6, s1, v5
	v_mad_u64_u32 v[1:2], s[0:1], s0, v5, v[1:2]
	s_addc_u32 s17, s17, 0
	s_add_u32 s6, s6, 8
	v_add3_u32 v2, v6, v2, v4
	v_mov_b32_e32 v4, s10
	v_mov_b32_e32 v5, s11
	s_addc_u32 s7, s7, 0
	v_cmp_ge_u64_e32 vcc, s[16:17], v[4:5]
	s_add_u32 s14, s14, 8
	s_addc_u32 s15, s15, 0
	s_cbranch_vccnz .LBB0_9
; %bb.7:                                ;   in Loop: Header=BB0_2 Depth=1
	v_mov_b32_e32 v5, v7
	v_mov_b32_e32 v6, v8
	s_branch .LBB0_2
.LBB0_8:
	v_mov_b32_e32 v8, v6
	v_mov_b32_e32 v7, v5
.LBB0_9:
	s_lshl_b64 s[0:1], s[10:11], 3
	s_add_u32 s0, s12, s0
	s_addc_u32 s1, s13, s1
	s_load_dwordx2 s[6:7], s[0:1], 0x0
	s_load_dwordx2 s[10:11], s[4:5], 0x20
	v_mov_b32_e32 v13, 0
	v_mov_b32_e32 v10, 0
                                        ; implicit-def: $vgpr14
                                        ; implicit-def: $vgpr12
                                        ; implicit-def: $vgpr11
	s_waitcnt lgkmcnt(0)
	v_mad_u64_u32 v[1:2], s[0:1], s6, v7, v[1:2]
	v_mul_lo_u32 v3, s6, v8
	v_mul_lo_u32 v4, s7, v7
	s_mov_b32 s0, 0x124924a
	v_mul_hi_u32 v5, v0, s0
	v_cmp_gt_u64_e64 s[0:1], s[10:11], v[7:8]
	v_add3_u32 v2, v4, v2, v3
	v_lshlrev_b64 v[8:9], 2, v[1:2]
	v_mul_u32_u24_e32 v3, 0xe0, v5
	v_sub_u32_e32 v6, v0, v3
	v_mov_b32_e32 v0, 0
	v_mov_b32_e32 v4, 0
                                        ; implicit-def: $vgpr1
                                        ; implicit-def: $vgpr7
                                        ; implicit-def: $vgpr3
                                        ; implicit-def: $vgpr5
                                        ; implicit-def: $vgpr2
	s_and_saveexec_b64 s[4:5], s[0:1]
	s_cbranch_execz .LBB0_11
; %bb.10:
	v_mov_b32_e32 v7, 0
	v_mov_b32_e32 v0, s3
	v_add_co_u32_e32 v2, vcc, s2, v8
	v_addc_co_u32_e32 v3, vcc, v0, v9, vcc
	v_lshlrev_b64 v[0:1], 2, v[6:7]
	s_movk_i32 s6, 0x1000
	v_add_co_u32_e32 v14, vcc, v2, v0
	v_addc_co_u32_e32 v15, vcc, v3, v1, vcc
	global_load_dword v0, v[14:15], off
	global_load_dword v1, v[14:15], off offset:3584
	v_add_co_u32_e32 v16, vcc, s6, v14
	v_addc_co_u32_e32 v17, vcc, 0, v15, vcc
	global_load_dword v2, v[16:17], off offset:2176
	global_load_dword v11, v[16:17], off offset:1280
	;; [unrolled: 1-line block ×6, first 2 shown]
	s_waitcnt vmcnt(5)
	v_lshrrev_b32_e32 v5, 16, v2
	v_lshrrev_b32_e32 v14, 16, v1
	s_waitcnt vmcnt(4)
	v_lshrrev_b32_e32 v12, 16, v11
	s_waitcnt vmcnt(3)
	v_lshrrev_b32_e32 v7, 16, v3
.LBB0_11:
	s_or_b64 exec, exec, s[4:5]
	v_lshrrev_b32_e32 v15, 16, v0
	v_sub_f16_e32 v1, v0, v1
	v_sub_f16_e32 v14, v15, v14
	s_waitcnt vmcnt(1)
	v_lshrrev_b32_e32 v16, 16, v13
	v_sub_f16_e32 v11, v13, v11
	v_fma_f16 v0, v0, 2.0, -v1
	v_sub_f16_e32 v12, v16, v12
	v_fma_f16 v13, v13, 2.0, -v11
	v_add_f16_e32 v17, v14, v11
	s_waitcnt vmcnt(0)
	v_lshrrev_b32_e32 v11, 16, v10
	v_sub_f16_e32 v3, v10, v3
	v_sub_f16_e32 v2, v4, v2
	v_fma_f16 v16, v16, 2.0, -v12
	v_sub_f16_e32 v13, v0, v13
	v_sub_f16_e32 v12, v1, v12
	;; [unrolled: 1-line block ×3, first 2 shown]
	v_fma_f16 v10, v10, 2.0, -v3
	v_lshrrev_b32_e32 v18, 16, v4
	v_fma_f16 v4, v4, 2.0, -v2
	v_fma_f16 v0, v0, 2.0, -v13
	;; [unrolled: 1-line block ×3, first 2 shown]
	v_sub_f16_e32 v5, v18, v5
	v_sub_f16_e32 v4, v10, v4
	v_add_f16_e32 v2, v7, v2
	v_fma_f16 v15, v15, 2.0, -v14
	v_fma_f16 v11, v11, 2.0, -v7
	;; [unrolled: 1-line block ×4, first 2 shown]
	v_sub_f16_e32 v5, v3, v5
	v_fma_f16 v21, v7, 2.0, -v2
	v_lshl_add_u32 v7, v6, 3, 0
	v_pack_b32_f16 v10, v13, v12
	v_pack_b32_f16 v0, v0, v1
	v_sub_f16_e32 v16, v15, v16
	v_fma_f16 v3, v3, 2.0, -v5
	ds_write2_b32 v7, v0, v10 offset1:1
	v_add_u32_e32 v10, 0xe0, v6
	v_fma_f16 v15, v15, 2.0, -v16
	v_fma_f16 v14, v14, 2.0, -v17
	v_sub_f16_e32 v18, v11, v18
	v_lshl_add_u32 v0, v10, 3, 0
	v_pack_b32_f16 v1, v4, v5
	v_pack_b32_f16 v3, v19, v3
	v_fma_f16 v20, v11, 2.0, -v18
	ds_write2_b32 v0, v3, v1 offset1:1
	v_mad_i32_i24 v11, v6, -6, v7
	v_pack_b32_f16 v1, v16, v17
	v_pack_b32_f16 v4, v15, v14
	s_waitcnt lgkmcnt(0)
	s_barrier
	ds_read_u16 v3, v11
	ds_read_u16 v5, v11 offset:3136
	ds_read_u16 v12, v11 offset:2688
	;; [unrolled: 1-line block ×7, first 2 shown]
	s_waitcnt lgkmcnt(0)
	s_barrier
	ds_write2_b32 v7, v4, v1 offset1:1
	v_pack_b32_f16 v1, v18, v2
	v_pack_b32_f16 v2, v20, v21
	v_and_b32_e32 v4, 3, v6
	ds_write2_b32 v0, v2, v1 offset1:1
	v_mul_u32_u24_e32 v0, 3, v4
	v_lshlrev_b32_e32 v0, 2, v0
	s_waitcnt lgkmcnt(0)
	s_barrier
	global_load_dwordx3 v[0:2], v0, s[8:9]
	ds_read_u16 v18, v11 offset:2688
	ds_read_u16 v19, v11 offset:1792
	;; [unrolled: 1-line block ×7, first 2 shown]
	s_movk_i32 s4, 0x3f0
	v_cmp_gt_u32_e32 vcc, 32, v6
	v_lshl_add_u32 v32, v6, 1, 0
	s_waitcnt vmcnt(0) lgkmcnt(4)
	v_mul_f16_sdwa v25, v20, v0 dst_sel:DWORD dst_unused:UNUSED_PAD src0_sel:DWORD src1_sel:WORD_1
	v_mul_f16_sdwa v26, v16, v0 dst_sel:DWORD dst_unused:UNUSED_PAD src0_sel:DWORD src1_sel:WORD_1
	v_fma_f16 v16, v16, v0, -v25
	v_mul_f16_sdwa v25, v18, v2 dst_sel:DWORD dst_unused:UNUSED_PAD src0_sel:DWORD src1_sel:WORD_1
	v_fma_f16 v25, v12, v2, -v25
	v_mul_f16_sdwa v12, v12, v2 dst_sel:DWORD dst_unused:UNUSED_PAD src0_sel:DWORD src1_sel:WORD_1
	v_fma_f16 v12, v18, v2, v12
	s_waitcnt lgkmcnt(2)
	v_mul_f16_sdwa v18, v22, v0 dst_sel:DWORD dst_unused:UNUSED_PAD src0_sel:DWORD src1_sel:WORD_1
	v_fma_f16 v18, v15, v0, -v18
	v_mul_f16_sdwa v15, v15, v0 dst_sel:DWORD dst_unused:UNUSED_PAD src0_sel:DWORD src1_sel:WORD_1
	v_fma_f16 v20, v20, v0, v26
	v_fma_f16 v0, v22, v0, v15
	v_mul_f16_sdwa v15, v21, v1 dst_sel:DWORD dst_unused:UNUSED_PAD src0_sel:DWORD src1_sel:WORD_1
	v_mul_f16_sdwa v27, v19, v1 dst_sel:DWORD dst_unused:UNUSED_PAD src0_sel:DWORD src1_sel:WORD_1
	;; [unrolled: 1-line block ×3, first 2 shown]
	v_fma_f16 v15, v13, v1, -v15
	v_mul_f16_sdwa v13, v13, v1 dst_sel:DWORD dst_unused:UNUSED_PAD src0_sel:DWORD src1_sel:WORD_1
	v_fma_f16 v14, v14, v1, -v27
	v_fma_f16 v19, v19, v1, v28
	v_fma_f16 v1, v21, v1, v13
	s_waitcnt lgkmcnt(1)
	v_mul_f16_sdwa v13, v23, v2 dst_sel:DWORD dst_unused:UNUSED_PAD src0_sel:DWORD src1_sel:WORD_1
	v_fma_f16 v13, v5, v2, -v13
	v_mul_f16_sdwa v5, v5, v2 dst_sel:DWORD dst_unused:UNUSED_PAD src0_sel:DWORD src1_sel:WORD_1
	v_fma_f16 v2, v23, v2, v5
	v_sub_f16_e32 v5, v3, v14
	v_sub_f16_e32 v14, v16, v25
	v_fma_f16 v3, v3, 2.0, -v5
	v_fma_f16 v16, v16, 2.0, -v14
	v_lshlrev_b32_e32 v22, 2, v6
	v_sub_f16_e32 v16, v3, v16
	v_and_or_b32 v23, v22, s4, v4
	v_fma_f16 v3, v3, 2.0, -v16
	v_lshl_add_u32 v23, v23, 1, 0
	ds_read_u16 v21, v11
	s_waitcnt lgkmcnt(0)
	s_barrier
	ds_write_b16 v23, v3
	v_sub_f16_e32 v3, v20, v12
	v_fma_f16 v12, v20, 2.0, -v3
	v_sub_f16_e32 v3, v5, v3
	v_fma_f16 v5, v5, 2.0, -v3
	ds_write_b16 v23, v5 offset:8
	ds_write_b16 v23, v16 offset:16
	;; [unrolled: 1-line block ×3, first 2 shown]
	v_sub_f16_e32 v3, v17, v15
	v_sub_f16_e32 v13, v18, v13
	v_fma_f16 v5, v17, 2.0, -v3
	v_fma_f16 v15, v18, 2.0, -v13
	s_movk_i32 s4, 0x7f0
	v_lshlrev_b32_e32 v25, 2, v10
	v_sub_f16_e32 v15, v5, v15
	v_and_or_b32 v4, v25, s4, v4
	v_fma_f16 v5, v5, 2.0, -v15
	v_lshl_add_u32 v4, v4, 1, 0
	v_sub_f16_e32 v2, v0, v2
	ds_write_b16 v4, v5
	v_sub_f16_e32 v5, v3, v2
	v_fma_f16 v3, v3, 2.0, -v5
	ds_write_b16 v4, v3 offset:8
	v_sub_f16_e32 v3, v21, v19
	v_fma_f16 v16, v21, 2.0, -v3
	v_sub_f16_e32 v1, v24, v1
	v_sub_f16_e32 v12, v16, v12
	v_add_f16_e32 v14, v3, v14
	v_fma_f16 v0, v0, 2.0, -v2
	v_fma_f16 v2, v24, 2.0, -v1
	;; [unrolled: 1-line block ×4, first 2 shown]
	v_sub_f16_e32 v0, v2, v0
	ds_write_b16 v4, v15 offset:16
	ds_write_b16 v4, v5 offset:24
	s_waitcnt lgkmcnt(0)
	s_barrier
	ds_read_u16 v5, v11
	ds_read_u16 v15, v11 offset:3136
	ds_read_u16 v17, v11 offset:2688
	;; [unrolled: 1-line block ×7, first 2 shown]
	s_waitcnt lgkmcnt(0)
	s_barrier
	ds_write_b16 v23, v16
	ds_write_b16 v23, v3 offset:8
	ds_write_b16 v23, v12 offset:16
	;; [unrolled: 1-line block ×3, first 2 shown]
	v_fma_f16 v2, v2, 2.0, -v0
	v_add_f16_e32 v3, v1, v13
	v_fma_f16 v1, v1, 2.0, -v3
	ds_write_b16 v4, v2
	ds_write_b16 v4, v1 offset:8
	ds_write_b16 v4, v0 offset:16
	;; [unrolled: 1-line block ×3, first 2 shown]
	v_and_b32_e32 v3, 15, v6
	v_mul_u32_u24_e32 v0, 3, v3
	v_lshlrev_b32_e32 v0, 2, v0
	s_waitcnt lgkmcnt(0)
	s_barrier
	global_load_dwordx3 v[0:2], v0, s[8:9] offset:48
	ds_read_u16 v4, v11 offset:2688
	ds_read_u16 v12, v11 offset:1792
	;; [unrolled: 1-line block ×7, first 2 shown]
	s_movk_i32 s4, 0x3c0
	s_waitcnt vmcnt(0) lgkmcnt(4)
	v_mul_f16_sdwa v27, v13, v0 dst_sel:DWORD dst_unused:UNUSED_PAD src0_sel:DWORD src1_sel:WORD_1
	v_fma_f16 v27, v21, v0, -v27
	v_mul_f16_sdwa v21, v21, v0 dst_sel:DWORD dst_unused:UNUSED_PAD src0_sel:DWORD src1_sel:WORD_1
	v_fma_f16 v13, v13, v0, v21
	v_mul_f16_sdwa v21, v12, v1 dst_sel:DWORD dst_unused:UNUSED_PAD src0_sel:DWORD src1_sel:WORD_1
	v_fma_f16 v21, v19, v1, -v21
	v_mul_f16_sdwa v19, v19, v1 dst_sel:DWORD dst_unused:UNUSED_PAD src0_sel:DWORD src1_sel:WORD_1
	v_fma_f16 v12, v12, v1, v19
	;; [unrolled: 4-line block ×3, first 2 shown]
	s_waitcnt lgkmcnt(2)
	v_mul_f16_sdwa v17, v16, v0 dst_sel:DWORD dst_unused:UNUSED_PAD src0_sel:DWORD src1_sel:WORD_1
	v_fma_f16 v17, v20, v0, -v17
	v_mul_f16_sdwa v20, v20, v0 dst_sel:DWORD dst_unused:UNUSED_PAD src0_sel:DWORD src1_sel:WORD_1
	v_fma_f16 v0, v16, v0, v20
	v_mul_f16_sdwa v16, v14, v1 dst_sel:DWORD dst_unused:UNUSED_PAD src0_sel:DWORD src1_sel:WORD_1
	v_fma_f16 v16, v18, v1, -v16
	v_mul_f16_sdwa v18, v18, v1 dst_sel:DWORD dst_unused:UNUSED_PAD src0_sel:DWORD src1_sel:WORD_1
	v_fma_f16 v1, v14, v1, v18
	s_waitcnt lgkmcnt(1)
	v_mul_f16_sdwa v14, v23, v2 dst_sel:DWORD dst_unused:UNUSED_PAD src0_sel:DWORD src1_sel:WORD_1
	v_fma_f16 v14, v15, v2, -v14
	v_mul_f16_sdwa v15, v15, v2 dst_sel:DWORD dst_unused:UNUSED_PAD src0_sel:DWORD src1_sel:WORD_1
	v_fma_f16 v2, v23, v2, v15
	v_sub_f16_e32 v15, v5, v21
	v_sub_f16_e32 v18, v27, v19
	v_fma_f16 v5, v5, 2.0, -v15
	v_fma_f16 v19, v27, 2.0, -v18
	v_sub_f16_e32 v19, v5, v19
	v_and_or_b32 v21, v22, s4, v3
	v_fma_f16 v5, v5, 2.0, -v19
	v_lshl_add_u32 v21, v21, 1, 0
	v_sub_f16_e32 v4, v13, v4
	ds_read_u16 v20, v11
	s_waitcnt lgkmcnt(0)
	s_barrier
	ds_write_b16 v21, v5
	v_fma_f16 v5, v13, 2.0, -v4
	v_sub_f16_e32 v4, v15, v4
	v_fma_f16 v13, v15, 2.0, -v4
	ds_write_b16 v21, v13 offset:32
	ds_write_b16 v21, v19 offset:64
	;; [unrolled: 1-line block ×3, first 2 shown]
	v_sub_f16_e32 v4, v26, v16
	v_sub_f16_e32 v14, v17, v14
	v_fma_f16 v13, v26, 2.0, -v4
	v_fma_f16 v15, v17, 2.0, -v14
	s_movk_i32 s4, 0x7c0
	v_sub_f16_e32 v15, v13, v15
	v_and_or_b32 v3, v25, s4, v3
	v_fma_f16 v13, v13, 2.0, -v15
	v_lshl_add_u32 v3, v3, 1, 0
	v_sub_f16_e32 v2, v0, v2
	ds_write_b16 v3, v13
	v_sub_f16_e32 v13, v4, v2
	v_fma_f16 v4, v4, 2.0, -v13
	ds_write_b16 v3, v4 offset:32
	v_sub_f16_e32 v4, v20, v12
	v_fma_f16 v12, v20, 2.0, -v4
	v_sub_f16_e32 v5, v12, v5
	v_fma_f16 v12, v12, 2.0, -v5
	v_sub_f16_e32 v1, v24, v1
	ds_write_b16 v3, v15 offset:64
	ds_write_b16 v3, v13 offset:96
	s_waitcnt lgkmcnt(0)
	s_barrier
	ds_read_u16 v13, v11
	ds_read_u16 v15, v11 offset:3136
	ds_read_u16 v23, v11 offset:2688
	;; [unrolled: 1-line block ×7, first 2 shown]
	s_waitcnt lgkmcnt(0)
	s_barrier
	ds_write_b16 v21, v12
	v_add_f16_e32 v12, v4, v18
	v_fma_f16 v0, v0, 2.0, -v2
	v_fma_f16 v2, v24, 2.0, -v1
	;; [unrolled: 1-line block ×3, first 2 shown]
	v_sub_f16_e32 v0, v2, v0
	ds_write_b16 v21, v4 offset:32
	ds_write_b16 v21, v5 offset:64
	;; [unrolled: 1-line block ×3, first 2 shown]
	v_fma_f16 v2, v2, 2.0, -v0
	v_add_f16_e32 v4, v1, v14
	v_and_b32_e32 v12, 63, v6
	v_fma_f16 v1, v1, 2.0, -v4
	ds_write_b16 v3, v2
	ds_write_b16 v3, v1 offset:32
	ds_write_b16 v3, v0 offset:64
	ds_write_b16 v3, v4 offset:96
	v_mul_u32_u24_e32 v0, 3, v12
	v_lshlrev_b32_e32 v0, 2, v0
	s_waitcnt lgkmcnt(0)
	s_barrier
	global_load_dwordx3 v[0:2], v0, s[8:9] offset:240
	v_and_b32_e32 v14, 63, v10
	v_mul_u32_u24_e32 v3, 3, v14
	v_lshlrev_b32_e32 v3, 2, v3
	global_load_dwordx3 v[3:5], v3, s[8:9] offset:240
	ds_read_u16 v21, v11 offset:2688
	ds_read_u16 v19, v11 offset:1792
	;; [unrolled: 1-line block ×7, first 2 shown]
	s_movk_i32 s4, 0x300
	v_and_or_b32 v12, v22, s4, v12
	s_movk_i32 s4, 0x700
	s_waitcnt vmcnt(1) lgkmcnt(4)
	v_mul_f16_sdwa v31, v24, v0 dst_sel:DWORD dst_unused:UNUSED_PAD src0_sel:DWORD src1_sel:WORD_1
	v_fma_f16 v31, v27, v0, -v31
	v_mul_f16_sdwa v27, v27, v0 dst_sel:DWORD dst_unused:UNUSED_PAD src0_sel:DWORD src1_sel:WORD_1
	v_fma_f16 v27, v24, v0, v27
	v_mul_f16_sdwa v0, v21, v2 dst_sel:DWORD dst_unused:UNUSED_PAD src0_sel:DWORD src1_sel:WORD_1
	v_fma_f16 v0, v23, v2, -v0
	v_mul_f16_sdwa v23, v23, v2 dst_sel:DWORD dst_unused:UNUSED_PAD src0_sel:DWORD src1_sel:WORD_1
	v_fma_f16 v2, v21, v2, v23
	s_waitcnt vmcnt(0) lgkmcnt(2)
	v_mul_f16_sdwa v21, v28, v3 dst_sel:DWORD dst_unused:UNUSED_PAD src0_sel:DWORD src1_sel:WORD_1
	v_mul_f16_sdwa v23, v26, v3 dst_sel:DWORD dst_unused:UNUSED_PAD src0_sel:DWORD src1_sel:WORD_1
	v_fma_f16 v21, v26, v3, -v21
	v_fma_f16 v3, v28, v3, v23
	s_waitcnt lgkmcnt(1)
	v_mul_f16_sdwa v23, v29, v5 dst_sel:DWORD dst_unused:UNUSED_PAD src0_sel:DWORD src1_sel:WORD_1
	v_fma_f16 v23, v15, v5, -v23
	v_mul_f16_sdwa v15, v15, v5 dst_sel:DWORD dst_unused:UNUSED_PAD src0_sel:DWORD src1_sel:WORD_1
	v_fma_f16 v5, v29, v5, v15
	v_mul_f16_sdwa v15, v19, v1 dst_sel:DWORD dst_unused:UNUSED_PAD src0_sel:DWORD src1_sel:WORD_1
	v_fma_f16 v15, v17, v1, -v15
	v_sub_f16_e32 v15, v13, v15
	v_sub_f16_e32 v29, v31, v0
	v_fma_f16 v13, v13, 2.0, -v15
	v_fma_f16 v0, v31, 2.0, -v29
	v_sub_f16_e32 v33, v27, v2
	v_sub_f16_e32 v0, v13, v0
	;; [unrolled: 1-line block ×3, first 2 shown]
	v_fma_f16 v13, v13, 2.0, -v0
	v_lshl_add_u32 v28, v12, 1, 0
	v_fma_f16 v12, v15, 2.0, -v2
	ds_read_u16 v31, v11
	s_waitcnt lgkmcnt(0)
	s_barrier
	ds_write_b16 v28, v13
	ds_write_b16 v28, v12 offset:128
	ds_write_b16 v28, v0 offset:256
	;; [unrolled: 1-line block ×3, first 2 shown]
	v_mul_f16_sdwa v2, v20, v4 dst_sel:DWORD dst_unused:UNUSED_PAD src0_sel:DWORD src1_sel:WORD_1
	v_fma_f16 v2, v16, v4, -v2
	v_sub_f16_e32 v12, v30, v2
	v_sub_f16_e32 v34, v21, v23
	v_fma_f16 v2, v30, 2.0, -v12
	v_fma_f16 v13, v21, 2.0, -v34
	v_and_or_b32 v0, v25, s4, v14
	v_sub_f16_e32 v13, v2, v13
	v_fma_f16 v2, v2, 2.0, -v13
	v_lshl_add_u32 v30, v0, 1, 0
	v_sub_f16_e32 v36, v3, v5
	ds_write_b16 v30, v2
	v_sub_f16_e32 v2, v12, v36
	v_fma_f16 v0, v12, 2.0, -v2
	ds_write_b16 v30, v0 offset:128
	ds_write_b16 v30, v13 offset:256
	ds_write_b16 v30, v2 offset:384
	s_waitcnt lgkmcnt(0)
	s_barrier
	ds_read_u16 v0, v11
	ds_read_u16 v24, v11 offset:512
	ds_read_u16 v21, v11 offset:1024
	;; [unrolled: 1-line block ×6, first 2 shown]
	v_mul_i32_i24_e32 v5, -6, v6
	v_add_u32_e32 v35, v7, v5
                                        ; implicit-def: $vgpr12
                                        ; implicit-def: $vgpr13
                                        ; implicit-def: $vgpr11
                                        ; implicit-def: $vgpr5
                                        ; implicit-def: $vgpr14
                                        ; implicit-def: $vgpr15
	s_and_saveexec_b64 s[4:5], vcc
	s_cbranch_execz .LBB0_13
; %bb.12:
	ds_read_u16 v2, v35 offset:448
	ds_read_u16 v12, v32 offset:960
	;; [unrolled: 1-line block ×7, first 2 shown]
.LBB0_13:
	s_or_b64 exec, exec, s[4:5]
	v_mul_f16_sdwa v7, v17, v1 dst_sel:DWORD dst_unused:UNUSED_PAD src0_sel:DWORD src1_sel:WORD_1
	v_fma_f16 v1, v19, v1, v7
	v_mul_f16_sdwa v7, v16, v4 dst_sel:DWORD dst_unused:UNUSED_PAD src0_sel:DWORD src1_sel:WORD_1
	v_fma_f16 v4, v20, v4, v7
	v_sub_f16_e32 v1, v31, v1
	v_fma_f16 v7, v31, 2.0, -v1
	v_fma_f16 v16, v27, 2.0, -v33
	v_sub_f16_e32 v4, v18, v4
	v_sub_f16_e32 v16, v7, v16
	v_add_f16_e32 v17, v1, v29
	v_fma_f16 v18, v18, 2.0, -v4
	v_fma_f16 v3, v3, 2.0, -v36
	;; [unrolled: 1-line block ×4, first 2 shown]
	v_sub_f16_e32 v19, v18, v3
	v_add_f16_e32 v3, v4, v34
	v_fma_f16 v18, v18, 2.0, -v19
	v_fma_f16 v4, v4, 2.0, -v3
	s_waitcnt lgkmcnt(0)
	s_barrier
	ds_write_b16 v28, v7
	ds_write_b16 v28, v1 offset:128
	ds_write_b16 v28, v16 offset:256
	;; [unrolled: 1-line block ×3, first 2 shown]
	ds_write_b16 v30, v18
	ds_write_b16 v30, v4 offset:128
	ds_write_b16 v30, v19 offset:256
	;; [unrolled: 1-line block ×3, first 2 shown]
	s_waitcnt lgkmcnt(0)
	s_barrier
	ds_read_u16 v1, v35
	ds_read_u16 v27, v35 offset:512
	ds_read_u16 v7, v35 offset:1024
	;; [unrolled: 1-line block ×6, first 2 shown]
                                        ; implicit-def: $vgpr17
                                        ; implicit-def: $vgpr16
                                        ; implicit-def: $vgpr4
                                        ; implicit-def: $vgpr18
                                        ; implicit-def: $vgpr19
                                        ; implicit-def: $vgpr20
	s_and_saveexec_b64 s[4:5], vcc
	s_cbranch_execz .LBB0_15
; %bb.14:
	ds_read_u16 v3, v35 offset:448
	ds_read_u16 v20, v32 offset:960
	;; [unrolled: 1-line block ×7, first 2 shown]
.LBB0_15:
	s_or_b64 exec, exec, s[4:5]
	s_and_saveexec_b64 s[4:5], s[0:1]
	s_cbranch_execz .LBB0_18
; %bb.16:
	v_mul_u32_u24_e32 v32, 6, v6
	v_lshlrev_b32_e32 v38, 2, v32
	global_load_dwordx4 v[32:35], v38, s[8:9] offset:1008
	global_load_dwordx2 v[36:37], v38, s[8:9] offset:1024
	s_movk_i32 s0, 0x3a52
	s_movk_i32 s5, 0x3574
	s_mov_b32 s6, 0xbcab
	s_movk_i32 s10, 0x3b00
	s_mov_b32 s12, 0xb9e0
	s_movk_i32 s13, 0x39e0
	s_movk_i32 s4, 0x370e
	s_mov_b32 s11, 0xb574
	s_movk_i32 s7, 0x2b26
	s_waitcnt vmcnt(1) lgkmcnt(5)
	v_mul_f16_sdwa v38, v27, v32 dst_sel:DWORD dst_unused:UNUSED_PAD src0_sel:DWORD src1_sel:WORD_1
	s_waitcnt vmcnt(0) lgkmcnt(0)
	v_mul_f16_sdwa v39, v31, v37 dst_sel:DWORD dst_unused:UNUSED_PAD src0_sel:DWORD src1_sel:WORD_1
	v_mul_f16_sdwa v40, v29, v35 dst_sel:DWORD dst_unused:UNUSED_PAD src0_sel:DWORD src1_sel:WORD_1
	;; [unrolled: 1-line block ×11, first 2 shown]
	v_fma_f16 v24, v24, v32, -v38
	v_fma_f16 v26, v26, v37, -v39
	;; [unrolled: 1-line block ×6, first 2 shown]
	v_fma_f16 v31, v31, v37, v44
	v_fma_f16 v27, v27, v32, v45
	;; [unrolled: 1-line block ×6, first 2 shown]
	v_sub_f16_e32 v32, v24, v26
	v_sub_f16_e32 v33, v25, v22
	;; [unrolled: 1-line block ×3, first 2 shown]
	v_add_f16_e32 v35, v27, v31
	v_add_f16_e32 v37, v7, v30
	v_add_f16_e32 v24, v24, v26
	v_add_f16_e32 v22, v25, v22
	v_add_f16_e32 v21, v21, v23
	v_add_f16_e32 v36, v29, v28
	v_sub_f16_e32 v23, v27, v31
	v_sub_f16_e32 v25, v29, v28
	;; [unrolled: 1-line block ×3, first 2 shown]
	v_add_f16_e32 v31, v35, v37
	v_sub_f16_e32 v38, v22, v21
	v_add_f16_e32 v39, v24, v21
	v_sub_f16_e32 v26, v32, v33
	v_sub_f16_e32 v27, v33, v34
	v_add_f16_e32 v28, v33, v34
	v_sub_f16_e32 v29, v35, v36
	v_sub_f16_e32 v30, v36, v37
	;; [unrolled: 1-line block ×5, first 2 shown]
	v_add_f16_e32 v31, v36, v31
	v_mul_f16_e32 v37, 0x2b26, v38
	v_add_f16_e32 v22, v22, v39
	v_sub_f16_e32 v40, v23, v25
	v_add_f16_e32 v25, v25, v7
	v_sub_f16_e32 v34, v34, v32
	v_mul_f16_e32 v27, 0xb846, v27
	v_mul_f16_e32 v30, 0x2b26, v30
	;; [unrolled: 1-line block ×4, first 2 shown]
	v_add_f16_e32 v42, v1, v31
	v_fma_f16 v1, v33, s0, v37
	v_add_f16_e32 v33, v0, v22
	v_sub_f16_e32 v21, v21, v24
	v_sub_f16_e32 v7, v7, v23
	v_add_f16_e32 v28, v32, v28
	v_mul_f16_e32 v32, 0x3a52, v29
	v_add_f16_e32 v25, v23, v25
	v_mul_f16_e32 v39, 0x3b00, v34
	v_fma_f16 v41, v26, s5, v27
	v_fma_f16 v29, v29, s0, v30
	v_fma_f16 v0, v40, s5, v38
	v_fma_f16 v31, v31, s6, v42
	v_fma_f16 v22, v22, s6, v33
	v_fma_f16 v24, v21, s12, -v36
	v_mul_f16_e32 v23, 0x3b00, v7
	v_fma_f16 v30, v35, s13, -v30
	v_fma_f16 v27, v34, s10, -v27
	;; [unrolled: 1-line block ×5, first 2 shown]
	v_fma_f16 v0, v25, s4, v0
	v_add_f16_e32 v1, v1, v22
	v_fma_f16 v23, v40, s11, -v23
	v_add_f16_e32 v30, v30, v31
	v_fma_f16 v27, v28, s4, v27
	v_fma_f16 v7, v25, s4, v7
	v_add_f16_e32 v21, v21, v22
	v_fma_f16 v39, v28, s4, v41
	v_fma_f16 v26, v28, s4, v26
	v_sub_f16_e32 v43, v1, v0
	v_add_f16_e32 v24, v24, v22
	v_fma_f16 v23, v25, s4, v23
	v_sub_f16_e32 v28, v30, v27
	v_add_f16_e32 v25, v7, v21
	v_add_f16_e32 v22, v27, v30
	v_sub_f16_e32 v21, v21, v7
	v_add_f16_e32 v27, v0, v1
	v_mov_b32_e32 v7, 0
	v_mov_b32_e32 v0, s3
	v_add_co_u32_e64 v8, s[0:1], s2, v8
	v_addc_co_u32_e64 v9, s[0:1], v0, v9, s[0:1]
	v_lshlrev_b64 v[0:1], 2, v[6:7]
	v_pack_b32_f16 v21, v21, v22
	v_add_co_u32_e64 v0, s[0:1], v8, v0
	v_addc_co_u32_e64 v1, s[0:1], v9, v1, s[0:1]
	v_fma_f16 v32, v35, s12, -v32
	global_store_dword v[0:1], v21, off offset:3072
	v_or_b32_e32 v21, 0x400, v6
	v_mov_b32_e32 v22, v7
	v_add_f16_e32 v32, v32, v31
	v_lshlrev_b64 v[21:22], 2, v[21:22]
	v_add_f16_e32 v44, v26, v32
	v_sub_f16_e32 v36, v24, v23
	v_sub_f16_e32 v26, v32, v26
	v_add_f16_e32 v23, v23, v24
	v_pack_b32_f16 v23, v23, v26
	v_add_co_u32_e64 v21, s[0:1], v8, v21
	global_store_dword v[0:1], v23, off offset:2048
	v_addc_co_u32_e64 v22, s[0:1], v9, v22, s[0:1]
	v_pack_b32_f16 v23, v25, v28
	global_store_dword v[21:22], v23, off
	v_or_b32_e32 v21, 0x500, v6
	v_mov_b32_e32 v22, v7
	v_lshlrev_b64 v[21:22], 2, v[21:22]
	v_pack_b32_f16 v23, v36, v44
	v_add_co_u32_e64 v21, s[0:1], v8, v21
	v_addc_co_u32_e64 v22, s[0:1], v9, v22, s[0:1]
	global_store_dword v[21:22], v23, off
	v_or_b32_e32 v21, 0x600, v6
	v_mov_b32_e32 v22, v7
	v_lshlrev_b64 v[21:22], 2, v[21:22]
	v_add_f16_e32 v29, v29, v31
	v_add_f16_e32 v41, v39, v29
	v_sub_f16_e32 v24, v29, v39
	v_add_co_u32_e64 v21, s[0:1], v8, v21
	v_pack_b32_f16 v29, v33, v42
	v_pack_b32_f16 v24, v27, v24
	v_addc_co_u32_e64 v22, s[0:1], v9, v22, s[0:1]
	v_pack_b32_f16 v23, v43, v41
	global_store_dword v[0:1], v29, off
	global_store_dword v[0:1], v24, off offset:1024
	global_store_dword v[21:22], v23, off
	s_and_b64 exec, exec, vcc
	s_cbranch_execz .LBB0_18
; %bb.17:
	v_mov_b32_e32 v21, 6
	v_mul_u32_u24_sdwa v10, v10, v21 dst_sel:DWORD dst_unused:UNUSED_PAD src0_sel:BYTE_0 src1_sel:DWORD
	v_lshlrev_b32_e32 v10, 2, v10
	global_load_dwordx4 v[21:24], v10, s[8:9] offset:1008
	global_load_dwordx2 v[25:26], v10, s[8:9] offset:1024
	s_waitcnt vmcnt(1)
	v_mul_f16_sdwa v10, v20, v21 dst_sel:DWORD dst_unused:UNUSED_PAD src0_sel:DWORD src1_sel:WORD_1
	v_mul_f16_sdwa v27, v12, v21 dst_sel:DWORD dst_unused:UNUSED_PAD src0_sel:DWORD src1_sel:WORD_1
	;; [unrolled: 1-line block ×4, first 2 shown]
	s_waitcnt vmcnt(0)
	v_mul_f16_sdwa v34, v18, v25 dst_sel:DWORD dst_unused:UNUSED_PAD src0_sel:DWORD src1_sel:WORD_1
	v_mul_f16_sdwa v35, v14, v25 dst_sel:DWORD dst_unused:UNUSED_PAD src0_sel:DWORD src1_sel:WORD_1
	;; [unrolled: 1-line block ×8, first 2 shown]
	v_fma_f16 v10, v12, v21, -v10
	v_fma_f16 v12, v20, v21, v27
	v_fma_f16 v13, v13, v22, -v28
	v_fma_f16 v17, v17, v22, v29
	;; [unrolled: 2-line block ×6, first 2 shown]
	v_add_f16_e32 v20, v10, v5
	v_add_f16_e32 v21, v12, v4
	v_sub_f16_e32 v5, v10, v5
	v_sub_f16_e32 v4, v12, v4
	v_add_f16_e32 v10, v13, v14
	v_add_f16_e32 v12, v17, v18
	v_sub_f16_e32 v13, v13, v14
	v_sub_f16_e32 v14, v17, v18
	;; [unrolled: 4-line block ×4, first 2 shown]
	v_sub_f16_e32 v20, v20, v17
	v_sub_f16_e32 v21, v21, v18
	;; [unrolled: 1-line block ×4, first 2 shown]
	v_add_f16_e32 v24, v11, v13
	v_add_f16_e32 v25, v15, v14
	v_sub_f16_e32 v26, v11, v13
	v_sub_f16_e32 v27, v15, v14
	v_add_f16_e32 v16, v17, v16
	v_add_f16_e32 v17, v18, v19
	v_sub_f16_e32 v11, v5, v11
	v_sub_f16_e32 v15, v4, v15
	;; [unrolled: 1-line block ×4, first 2 shown]
	v_add_f16_e32 v5, v24, v5
	v_add_f16_e32 v4, v25, v4
	v_mul_f16_e32 v18, 0x3a52, v20
	v_mul_f16_e32 v19, 0x3a52, v21
	;; [unrolled: 1-line block ×6, first 2 shown]
	v_add_f16_e32 v2, v2, v16
	v_add_f16_e32 v3, v3, v17
	v_mul_f16_e32 v26, 0x3b00, v13
	v_mul_f16_e32 v27, 0x3b00, v14
	v_fma_f16 v10, v10, s7, v18
	v_fma_f16 v12, v12, s7, v19
	v_fma_f16 v20, v22, s13, -v20
	v_fma_f16 v21, v23, s13, -v21
	;; [unrolled: 1-line block ×4, first 2 shown]
	v_fma_f16 v22, v11, s5, v24
	v_fma_f16 v23, v15, s5, v25
	;; [unrolled: 1-line block ×4, first 2 shown]
	v_fma_f16 v13, v13, s10, -v24
	v_fma_f16 v14, v14, s10, -v25
	;; [unrolled: 1-line block ×4, first 2 shown]
	v_add_f16_e32 v10, v10, v16
	v_add_f16_e32 v12, v12, v17
	;; [unrolled: 1-line block ×6, first 2 shown]
	v_fma_f16 v18, v5, s4, v22
	v_fma_f16 v19, v4, s4, v23
	;; [unrolled: 1-line block ×6, first 2 shown]
	v_add_f16_e32 v11, v19, v10
	v_sub_f16_e32 v15, v12, v18
	v_pack_b32_f16 v2, v2, v3
	v_add_f16_e32 v22, v4, v16
	v_sub_f16_e32 v23, v17, v5
	global_store_dword v[0:1], v2, off offset:896
	v_pack_b32_f16 v2, v11, v15
	v_sub_f16_e32 v24, v20, v14
	v_add_f16_e32 v25, v13, v21
	global_store_dword v[0:1], v2, off offset:1920
	v_pack_b32_f16 v2, v22, v23
	global_store_dword v[0:1], v2, off offset:2944
	v_pack_b32_f16 v2, v24, v25
	global_store_dword v[0:1], v2, off offset:3968
	v_or_b32_e32 v0, 0x4e0, v6
	v_mov_b32_e32 v1, v7
	v_lshlrev_b64 v[0:1], 2, v[0:1]
	v_add_f16_e32 v14, v14, v20
	v_sub_f16_e32 v13, v21, v13
	v_add_co_u32_e32 v0, vcc, v8, v0
	v_addc_co_u32_e32 v1, vcc, v9, v1, vcc
	v_pack_b32_f16 v2, v14, v13
	global_store_dword v[0:1], v2, off
	v_or_b32_e32 v0, 0x5e0, v6
	v_mov_b32_e32 v1, v7
	v_lshlrev_b64 v[0:1], 2, v[0:1]
	v_sub_f16_e32 v4, v16, v4
	v_add_f16_e32 v5, v5, v17
	v_add_co_u32_e32 v0, vcc, v8, v0
	v_addc_co_u32_e32 v1, vcc, v9, v1, vcc
	v_pack_b32_f16 v2, v4, v5
	v_or_b32_e32 v6, 0x6e0, v6
	global_store_dword v[0:1], v2, off
	v_lshlrev_b64 v[0:1], 2, v[6:7]
	v_sub_f16_e32 v10, v10, v19
	v_add_f16_e32 v12, v18, v12
	v_add_co_u32_e32 v0, vcc, v8, v0
	v_addc_co_u32_e32 v1, vcc, v9, v1, vcc
	v_pack_b32_f16 v2, v10, v12
	global_store_dword v[0:1], v2, off
.LBB0_18:
	s_endpgm
	.section	.rodata,"a",@progbits
	.p2align	6, 0x0
	.amdhsa_kernel fft_rtc_fwd_len1792_factors_4_4_4_4_7_wgs_224_tpt_224_halfLds_half_ip_CI_unitstride_sbrr_dirReg
		.amdhsa_group_segment_fixed_size 0
		.amdhsa_private_segment_fixed_size 0
		.amdhsa_kernarg_size 88
		.amdhsa_user_sgpr_count 6
		.amdhsa_user_sgpr_private_segment_buffer 1
		.amdhsa_user_sgpr_dispatch_ptr 0
		.amdhsa_user_sgpr_queue_ptr 0
		.amdhsa_user_sgpr_kernarg_segment_ptr 1
		.amdhsa_user_sgpr_dispatch_id 0
		.amdhsa_user_sgpr_flat_scratch_init 0
		.amdhsa_user_sgpr_private_segment_size 0
		.amdhsa_uses_dynamic_stack 0
		.amdhsa_system_sgpr_private_segment_wavefront_offset 0
		.amdhsa_system_sgpr_workgroup_id_x 1
		.amdhsa_system_sgpr_workgroup_id_y 0
		.amdhsa_system_sgpr_workgroup_id_z 0
		.amdhsa_system_sgpr_workgroup_info 0
		.amdhsa_system_vgpr_workitem_id 0
		.amdhsa_next_free_vgpr 50
		.amdhsa_next_free_sgpr 22
		.amdhsa_reserve_vcc 1
		.amdhsa_reserve_flat_scratch 0
		.amdhsa_float_round_mode_32 0
		.amdhsa_float_round_mode_16_64 0
		.amdhsa_float_denorm_mode_32 3
		.amdhsa_float_denorm_mode_16_64 3
		.amdhsa_dx10_clamp 1
		.amdhsa_ieee_mode 1
		.amdhsa_fp16_overflow 0
		.amdhsa_exception_fp_ieee_invalid_op 0
		.amdhsa_exception_fp_denorm_src 0
		.amdhsa_exception_fp_ieee_div_zero 0
		.amdhsa_exception_fp_ieee_overflow 0
		.amdhsa_exception_fp_ieee_underflow 0
		.amdhsa_exception_fp_ieee_inexact 0
		.amdhsa_exception_int_div_zero 0
	.end_amdhsa_kernel
	.text
.Lfunc_end0:
	.size	fft_rtc_fwd_len1792_factors_4_4_4_4_7_wgs_224_tpt_224_halfLds_half_ip_CI_unitstride_sbrr_dirReg, .Lfunc_end0-fft_rtc_fwd_len1792_factors_4_4_4_4_7_wgs_224_tpt_224_halfLds_half_ip_CI_unitstride_sbrr_dirReg
                                        ; -- End function
	.section	.AMDGPU.csdata,"",@progbits
; Kernel info:
; codeLenInByte = 6028
; NumSgprs: 26
; NumVgprs: 50
; ScratchSize: 0
; MemoryBound: 0
; FloatMode: 240
; IeeeMode: 1
; LDSByteSize: 0 bytes/workgroup (compile time only)
; SGPRBlocks: 3
; VGPRBlocks: 12
; NumSGPRsForWavesPerEU: 26
; NumVGPRsForWavesPerEU: 50
; Occupancy: 4
; WaveLimiterHint : 1
; COMPUTE_PGM_RSRC2:SCRATCH_EN: 0
; COMPUTE_PGM_RSRC2:USER_SGPR: 6
; COMPUTE_PGM_RSRC2:TRAP_HANDLER: 0
; COMPUTE_PGM_RSRC2:TGID_X_EN: 1
; COMPUTE_PGM_RSRC2:TGID_Y_EN: 0
; COMPUTE_PGM_RSRC2:TGID_Z_EN: 0
; COMPUTE_PGM_RSRC2:TIDIG_COMP_CNT: 0
	.type	__hip_cuid_293d058ee40e824c,@object ; @__hip_cuid_293d058ee40e824c
	.section	.bss,"aw",@nobits
	.globl	__hip_cuid_293d058ee40e824c
__hip_cuid_293d058ee40e824c:
	.byte	0                               ; 0x0
	.size	__hip_cuid_293d058ee40e824c, 1

	.ident	"AMD clang version 19.0.0git (https://github.com/RadeonOpenCompute/llvm-project roc-6.4.0 25133 c7fe45cf4b819c5991fe208aaa96edf142730f1d)"
	.section	".note.GNU-stack","",@progbits
	.addrsig
	.addrsig_sym __hip_cuid_293d058ee40e824c
	.amdgpu_metadata
---
amdhsa.kernels:
  - .args:
      - .actual_access:  read_only
        .address_space:  global
        .offset:         0
        .size:           8
        .value_kind:     global_buffer
      - .offset:         8
        .size:           8
        .value_kind:     by_value
      - .actual_access:  read_only
        .address_space:  global
        .offset:         16
        .size:           8
        .value_kind:     global_buffer
      - .actual_access:  read_only
        .address_space:  global
        .offset:         24
        .size:           8
        .value_kind:     global_buffer
      - .offset:         32
        .size:           8
        .value_kind:     by_value
      - .actual_access:  read_only
        .address_space:  global
        .offset:         40
        .size:           8
        .value_kind:     global_buffer
      - .actual_access:  read_only
        .address_space:  global
        .offset:         48
        .size:           8
        .value_kind:     global_buffer
      - .offset:         56
        .size:           4
        .value_kind:     by_value
      - .actual_access:  read_only
        .address_space:  global
        .offset:         64
        .size:           8
        .value_kind:     global_buffer
      - .actual_access:  read_only
        .address_space:  global
        .offset:         72
        .size:           8
        .value_kind:     global_buffer
      - .address_space:  global
        .offset:         80
        .size:           8
        .value_kind:     global_buffer
    .group_segment_fixed_size: 0
    .kernarg_segment_align: 8
    .kernarg_segment_size: 88
    .language:       OpenCL C
    .language_version:
      - 2
      - 0
    .max_flat_workgroup_size: 224
    .name:           fft_rtc_fwd_len1792_factors_4_4_4_4_7_wgs_224_tpt_224_halfLds_half_ip_CI_unitstride_sbrr_dirReg
    .private_segment_fixed_size: 0
    .sgpr_count:     26
    .sgpr_spill_count: 0
    .symbol:         fft_rtc_fwd_len1792_factors_4_4_4_4_7_wgs_224_tpt_224_halfLds_half_ip_CI_unitstride_sbrr_dirReg.kd
    .uniform_work_group_size: 1
    .uses_dynamic_stack: false
    .vgpr_count:     50
    .vgpr_spill_count: 0
    .wavefront_size: 64
amdhsa.target:   amdgcn-amd-amdhsa--gfx906
amdhsa.version:
  - 1
  - 2
...

	.end_amdgpu_metadata
